;; amdgpu-corpus repo=ROCm/rocFFT kind=compiled arch=gfx1100 opt=O3
	.text
	.amdgcn_target "amdgcn-amd-amdhsa--gfx1100"
	.amdhsa_code_object_version 6
	.protected	fft_rtc_back_len972_factors_3_6_3_6_3_wgs_162_tpt_162_halfLds_dp_ip_CI_sbrr_dirReg ; -- Begin function fft_rtc_back_len972_factors_3_6_3_6_3_wgs_162_tpt_162_halfLds_dp_ip_CI_sbrr_dirReg
	.globl	fft_rtc_back_len972_factors_3_6_3_6_3_wgs_162_tpt_162_halfLds_dp_ip_CI_sbrr_dirReg
	.p2align	8
	.type	fft_rtc_back_len972_factors_3_6_3_6_3_wgs_162_tpt_162_halfLds_dp_ip_CI_sbrr_dirReg,@function
fft_rtc_back_len972_factors_3_6_3_6_3_wgs_162_tpt_162_halfLds_dp_ip_CI_sbrr_dirReg: ; @fft_rtc_back_len972_factors_3_6_3_6_3_wgs_162_tpt_162_halfLds_dp_ip_CI_sbrr_dirReg
; %bb.0:
	s_clause 0x2
	s_load_b64 s[12:13], s[0:1], 0x18
	s_load_b128 s[4:7], s[0:1], 0x0
	s_load_b64 s[10:11], s[0:1], 0x50
	v_mul_u32_u24_e32 v1, 0x195, v0
	v_mov_b32_e32 v3, 0
	v_mov_b32_e32 v4, 0
	s_delay_alu instid0(VALU_DEP_3) | instskip(SKIP_1) | instid1(VALU_DEP_1)
	v_lshrrev_b32_e32 v2, 16, v1
	v_mov_b32_e32 v1, 0
	v_dual_mov_b32 v6, v1 :: v_dual_add_nc_u32 v5, s15, v2
	s_waitcnt lgkmcnt(0)
	s_load_b64 s[8:9], s[12:13], 0x0
	v_cmp_lt_u64_e64 s2, s[6:7], 2
	s_delay_alu instid0(VALU_DEP_1)
	s_and_b32 vcc_lo, exec_lo, s2
	s_cbranch_vccnz .LBB0_8
; %bb.1:
	s_load_b64 s[2:3], s[0:1], 0x10
	v_mov_b32_e32 v3, 0
	s_add_u32 s14, s12, 8
	v_mov_b32_e32 v4, 0
	s_addc_u32 s15, s13, 0
	s_mov_b64 s[18:19], 1
	s_waitcnt lgkmcnt(0)
	s_add_u32 s16, s2, 8
	s_addc_u32 s17, s3, 0
.LBB0_2:                                ; =>This Inner Loop Header: Depth=1
	s_load_b64 s[20:21], s[16:17], 0x0
                                        ; implicit-def: $vgpr7_vgpr8
	s_mov_b32 s2, exec_lo
	s_waitcnt lgkmcnt(0)
	v_or_b32_e32 v2, s21, v6
	s_delay_alu instid0(VALU_DEP_1)
	v_cmpx_ne_u64_e32 0, v[1:2]
	s_xor_b32 s3, exec_lo, s2
	s_cbranch_execz .LBB0_4
; %bb.3:                                ;   in Loop: Header=BB0_2 Depth=1
	v_cvt_f32_u32_e32 v2, s20
	v_cvt_f32_u32_e32 v7, s21
	s_sub_u32 s2, 0, s20
	s_subb_u32 s22, 0, s21
	s_delay_alu instid0(VALU_DEP_1) | instskip(NEXT) | instid1(VALU_DEP_1)
	v_fmac_f32_e32 v2, 0x4f800000, v7
	v_rcp_f32_e32 v2, v2
	s_waitcnt_depctr 0xfff
	v_mul_f32_e32 v2, 0x5f7ffffc, v2
	s_delay_alu instid0(VALU_DEP_1) | instskip(NEXT) | instid1(VALU_DEP_1)
	v_mul_f32_e32 v7, 0x2f800000, v2
	v_trunc_f32_e32 v7, v7
	s_delay_alu instid0(VALU_DEP_1) | instskip(SKIP_1) | instid1(VALU_DEP_2)
	v_fmac_f32_e32 v2, 0xcf800000, v7
	v_cvt_u32_f32_e32 v7, v7
	v_cvt_u32_f32_e32 v2, v2
	s_delay_alu instid0(VALU_DEP_2) | instskip(NEXT) | instid1(VALU_DEP_2)
	v_mul_lo_u32 v8, s2, v7
	v_mul_hi_u32 v9, s2, v2
	v_mul_lo_u32 v10, s22, v2
	s_delay_alu instid0(VALU_DEP_2) | instskip(SKIP_1) | instid1(VALU_DEP_2)
	v_add_nc_u32_e32 v8, v9, v8
	v_mul_lo_u32 v9, s2, v2
	v_add_nc_u32_e32 v8, v8, v10
	s_delay_alu instid0(VALU_DEP_2) | instskip(NEXT) | instid1(VALU_DEP_2)
	v_mul_hi_u32 v10, v2, v9
	v_mul_lo_u32 v11, v2, v8
	v_mul_hi_u32 v12, v2, v8
	v_mul_hi_u32 v13, v7, v9
	v_mul_lo_u32 v9, v7, v9
	v_mul_hi_u32 v14, v7, v8
	v_mul_lo_u32 v8, v7, v8
	v_add_co_u32 v10, vcc_lo, v10, v11
	v_add_co_ci_u32_e32 v11, vcc_lo, 0, v12, vcc_lo
	s_delay_alu instid0(VALU_DEP_2) | instskip(NEXT) | instid1(VALU_DEP_2)
	v_add_co_u32 v9, vcc_lo, v10, v9
	v_add_co_ci_u32_e32 v9, vcc_lo, v11, v13, vcc_lo
	v_add_co_ci_u32_e32 v10, vcc_lo, 0, v14, vcc_lo
	s_delay_alu instid0(VALU_DEP_2) | instskip(NEXT) | instid1(VALU_DEP_2)
	v_add_co_u32 v8, vcc_lo, v9, v8
	v_add_co_ci_u32_e32 v9, vcc_lo, 0, v10, vcc_lo
	s_delay_alu instid0(VALU_DEP_2) | instskip(NEXT) | instid1(VALU_DEP_2)
	v_add_co_u32 v2, vcc_lo, v2, v8
	v_add_co_ci_u32_e32 v7, vcc_lo, v7, v9, vcc_lo
	s_delay_alu instid0(VALU_DEP_2) | instskip(SKIP_1) | instid1(VALU_DEP_3)
	v_mul_hi_u32 v8, s2, v2
	v_mul_lo_u32 v10, s22, v2
	v_mul_lo_u32 v9, s2, v7
	s_delay_alu instid0(VALU_DEP_1) | instskip(SKIP_1) | instid1(VALU_DEP_2)
	v_add_nc_u32_e32 v8, v8, v9
	v_mul_lo_u32 v9, s2, v2
	v_add_nc_u32_e32 v8, v8, v10
	s_delay_alu instid0(VALU_DEP_2) | instskip(NEXT) | instid1(VALU_DEP_2)
	v_mul_hi_u32 v10, v2, v9
	v_mul_lo_u32 v11, v2, v8
	v_mul_hi_u32 v12, v2, v8
	v_mul_hi_u32 v13, v7, v9
	v_mul_lo_u32 v9, v7, v9
	v_mul_hi_u32 v14, v7, v8
	v_mul_lo_u32 v8, v7, v8
	v_add_co_u32 v10, vcc_lo, v10, v11
	v_add_co_ci_u32_e32 v11, vcc_lo, 0, v12, vcc_lo
	s_delay_alu instid0(VALU_DEP_2) | instskip(NEXT) | instid1(VALU_DEP_2)
	v_add_co_u32 v9, vcc_lo, v10, v9
	v_add_co_ci_u32_e32 v9, vcc_lo, v11, v13, vcc_lo
	v_add_co_ci_u32_e32 v10, vcc_lo, 0, v14, vcc_lo
	s_delay_alu instid0(VALU_DEP_2) | instskip(NEXT) | instid1(VALU_DEP_2)
	v_add_co_u32 v8, vcc_lo, v9, v8
	v_add_co_ci_u32_e32 v9, vcc_lo, 0, v10, vcc_lo
	s_delay_alu instid0(VALU_DEP_2) | instskip(NEXT) | instid1(VALU_DEP_2)
	v_add_co_u32 v2, vcc_lo, v2, v8
	v_add_co_ci_u32_e32 v13, vcc_lo, v7, v9, vcc_lo
	s_delay_alu instid0(VALU_DEP_2) | instskip(SKIP_1) | instid1(VALU_DEP_3)
	v_mul_hi_u32 v14, v5, v2
	v_mad_u64_u32 v[9:10], null, v6, v2, 0
	v_mad_u64_u32 v[7:8], null, v5, v13, 0
	;; [unrolled: 1-line block ×3, first 2 shown]
	s_delay_alu instid0(VALU_DEP_2) | instskip(NEXT) | instid1(VALU_DEP_3)
	v_add_co_u32 v2, vcc_lo, v14, v7
	v_add_co_ci_u32_e32 v7, vcc_lo, 0, v8, vcc_lo
	s_delay_alu instid0(VALU_DEP_2) | instskip(NEXT) | instid1(VALU_DEP_2)
	v_add_co_u32 v2, vcc_lo, v2, v9
	v_add_co_ci_u32_e32 v2, vcc_lo, v7, v10, vcc_lo
	v_add_co_ci_u32_e32 v7, vcc_lo, 0, v12, vcc_lo
	s_delay_alu instid0(VALU_DEP_2) | instskip(NEXT) | instid1(VALU_DEP_2)
	v_add_co_u32 v2, vcc_lo, v2, v11
	v_add_co_ci_u32_e32 v9, vcc_lo, 0, v7, vcc_lo
	s_delay_alu instid0(VALU_DEP_2) | instskip(SKIP_1) | instid1(VALU_DEP_3)
	v_mul_lo_u32 v10, s21, v2
	v_mad_u64_u32 v[7:8], null, s20, v2, 0
	v_mul_lo_u32 v11, s20, v9
	s_delay_alu instid0(VALU_DEP_2) | instskip(NEXT) | instid1(VALU_DEP_2)
	v_sub_co_u32 v7, vcc_lo, v5, v7
	v_add3_u32 v8, v8, v11, v10
	s_delay_alu instid0(VALU_DEP_1) | instskip(NEXT) | instid1(VALU_DEP_1)
	v_sub_nc_u32_e32 v10, v6, v8
	v_subrev_co_ci_u32_e64 v10, s2, s21, v10, vcc_lo
	v_add_co_u32 v11, s2, v2, 2
	s_delay_alu instid0(VALU_DEP_1) | instskip(SKIP_3) | instid1(VALU_DEP_3)
	v_add_co_ci_u32_e64 v12, s2, 0, v9, s2
	v_sub_co_u32 v13, s2, v7, s20
	v_sub_co_ci_u32_e32 v8, vcc_lo, v6, v8, vcc_lo
	v_subrev_co_ci_u32_e64 v10, s2, 0, v10, s2
	v_cmp_le_u32_e32 vcc_lo, s20, v13
	s_delay_alu instid0(VALU_DEP_3) | instskip(SKIP_1) | instid1(VALU_DEP_4)
	v_cmp_eq_u32_e64 s2, s21, v8
	v_cndmask_b32_e64 v13, 0, -1, vcc_lo
	v_cmp_le_u32_e32 vcc_lo, s21, v10
	v_cndmask_b32_e64 v14, 0, -1, vcc_lo
	v_cmp_le_u32_e32 vcc_lo, s20, v7
	;; [unrolled: 2-line block ×3, first 2 shown]
	v_cndmask_b32_e64 v15, 0, -1, vcc_lo
	v_cmp_eq_u32_e32 vcc_lo, s21, v10
	s_delay_alu instid0(VALU_DEP_2) | instskip(SKIP_3) | instid1(VALU_DEP_3)
	v_cndmask_b32_e64 v7, v15, v7, s2
	v_cndmask_b32_e32 v10, v14, v13, vcc_lo
	v_add_co_u32 v13, vcc_lo, v2, 1
	v_add_co_ci_u32_e32 v14, vcc_lo, 0, v9, vcc_lo
	v_cmp_ne_u32_e32 vcc_lo, 0, v10
	s_delay_alu instid0(VALU_DEP_2) | instskip(NEXT) | instid1(VALU_DEP_4)
	v_cndmask_b32_e32 v8, v14, v12, vcc_lo
	v_cndmask_b32_e32 v10, v13, v11, vcc_lo
	v_cmp_ne_u32_e32 vcc_lo, 0, v7
	s_delay_alu instid0(VALU_DEP_2)
	v_dual_cndmask_b32 v7, v2, v10 :: v_dual_cndmask_b32 v8, v9, v8
.LBB0_4:                                ;   in Loop: Header=BB0_2 Depth=1
	s_and_not1_saveexec_b32 s2, s3
	s_cbranch_execz .LBB0_6
; %bb.5:                                ;   in Loop: Header=BB0_2 Depth=1
	v_cvt_f32_u32_e32 v2, s20
	s_sub_i32 s3, 0, s20
	s_delay_alu instid0(VALU_DEP_1) | instskip(SKIP_2) | instid1(VALU_DEP_1)
	v_rcp_iflag_f32_e32 v2, v2
	s_waitcnt_depctr 0xfff
	v_mul_f32_e32 v2, 0x4f7ffffe, v2
	v_cvt_u32_f32_e32 v2, v2
	s_delay_alu instid0(VALU_DEP_1) | instskip(NEXT) | instid1(VALU_DEP_1)
	v_mul_lo_u32 v7, s3, v2
	v_mul_hi_u32 v7, v2, v7
	s_delay_alu instid0(VALU_DEP_1) | instskip(NEXT) | instid1(VALU_DEP_1)
	v_add_nc_u32_e32 v2, v2, v7
	v_mul_hi_u32 v2, v5, v2
	s_delay_alu instid0(VALU_DEP_1) | instskip(SKIP_1) | instid1(VALU_DEP_2)
	v_mul_lo_u32 v7, v2, s20
	v_add_nc_u32_e32 v8, 1, v2
	v_sub_nc_u32_e32 v7, v5, v7
	s_delay_alu instid0(VALU_DEP_1) | instskip(SKIP_1) | instid1(VALU_DEP_2)
	v_subrev_nc_u32_e32 v9, s20, v7
	v_cmp_le_u32_e32 vcc_lo, s20, v7
	v_dual_cndmask_b32 v7, v7, v9 :: v_dual_cndmask_b32 v2, v2, v8
	s_delay_alu instid0(VALU_DEP_1) | instskip(NEXT) | instid1(VALU_DEP_2)
	v_cmp_le_u32_e32 vcc_lo, s20, v7
	v_add_nc_u32_e32 v8, 1, v2
	s_delay_alu instid0(VALU_DEP_1)
	v_dual_cndmask_b32 v7, v2, v8 :: v_dual_mov_b32 v8, v1
.LBB0_6:                                ;   in Loop: Header=BB0_2 Depth=1
	s_or_b32 exec_lo, exec_lo, s2
	s_load_b64 s[2:3], s[14:15], 0x0
	s_delay_alu instid0(VALU_DEP_1) | instskip(NEXT) | instid1(VALU_DEP_2)
	v_mul_lo_u32 v2, v8, s20
	v_mul_lo_u32 v11, v7, s21
	v_mad_u64_u32 v[9:10], null, v7, s20, 0
	s_add_u32 s18, s18, 1
	s_addc_u32 s19, s19, 0
	s_add_u32 s14, s14, 8
	s_addc_u32 s15, s15, 0
	;; [unrolled: 2-line block ×3, first 2 shown]
	s_delay_alu instid0(VALU_DEP_1) | instskip(SKIP_1) | instid1(VALU_DEP_2)
	v_add3_u32 v2, v10, v11, v2
	v_sub_co_u32 v9, vcc_lo, v5, v9
	v_sub_co_ci_u32_e32 v2, vcc_lo, v6, v2, vcc_lo
	s_waitcnt lgkmcnt(0)
	s_delay_alu instid0(VALU_DEP_2) | instskip(NEXT) | instid1(VALU_DEP_2)
	v_mul_lo_u32 v10, s3, v9
	v_mul_lo_u32 v2, s2, v2
	v_mad_u64_u32 v[5:6], null, s2, v9, v[3:4]
	v_cmp_ge_u64_e64 s2, s[18:19], s[6:7]
	s_delay_alu instid0(VALU_DEP_1) | instskip(NEXT) | instid1(VALU_DEP_2)
	s_and_b32 vcc_lo, exec_lo, s2
	v_add3_u32 v4, v10, v6, v2
	s_delay_alu instid0(VALU_DEP_3)
	v_mov_b32_e32 v3, v5
	s_cbranch_vccnz .LBB0_9
; %bb.7:                                ;   in Loop: Header=BB0_2 Depth=1
	v_dual_mov_b32 v5, v7 :: v_dual_mov_b32 v6, v8
	s_branch .LBB0_2
.LBB0_8:
	v_dual_mov_b32 v8, v6 :: v_dual_mov_b32 v7, v5
.LBB0_9:
	s_lshl_b64 s[2:3], s[6:7], 3
	v_mul_hi_u32 v1, 0x1948b10, v0
	s_add_u32 s2, s12, s2
	s_addc_u32 s3, s13, s3
                                        ; implicit-def: $vgpr30
	s_load_b64 s[2:3], s[2:3], 0x0
	s_load_b64 s[0:1], s[0:1], 0x20
	s_delay_alu instid0(VALU_DEP_1) | instskip(NEXT) | instid1(VALU_DEP_1)
	v_mul_u32_u24_e32 v5, 0xa2, v1
	v_sub_nc_u32_e32 v27, v0, v5
	s_delay_alu instid0(VALU_DEP_1)
	v_add_nc_u32_e32 v26, 0xa2, v27
	s_waitcnt lgkmcnt(0)
	v_mul_lo_u32 v6, s2, v8
	v_mul_lo_u32 v9, s3, v7
	v_mad_u64_u32 v[1:2], null, s2, v7, v[3:4]
	v_cmp_gt_u64_e32 vcc_lo, s[0:1], v[7:8]
	v_cmp_le_u64_e64 s0, s[0:1], v[7:8]
	s_delay_alu instid0(VALU_DEP_3) | instskip(NEXT) | instid1(VALU_DEP_2)
	v_add3_u32 v2, v9, v2, v6
	s_and_saveexec_b32 s1, s0
	s_delay_alu instid0(SALU_CYCLE_1)
	s_xor_b32 s0, exec_lo, s1
; %bb.10:
	v_add_nc_u32_e32 v30, 0xa2, v27
; %bb.11:
	s_or_saveexec_b32 s1, s0
	v_lshlrev_b64 v[24:25], 4, v[1:2]
	v_add_nc_u32_e32 v28, 0x144, v27
	v_add_nc_u32_e32 v29, 0x288, v27
                                        ; implicit-def: $vgpr6_vgpr7
                                        ; implicit-def: $vgpr14_vgpr15
                                        ; implicit-def: $vgpr10_vgpr11
                                        ; implicit-def: $vgpr2_vgpr3
                                        ; implicit-def: $vgpr22_vgpr23
                                        ; implicit-def: $vgpr18_vgpr19
	s_xor_b32 exec_lo, exec_lo, s1
	s_cbranch_execz .LBB0_13
; %bb.12:
	v_mad_u64_u32 v[0:1], null, s8, v27, 0
	v_mad_u64_u32 v[2:3], null, s8, v28, 0
	;; [unrolled: 1-line block ×4, first 2 shown]
	v_add_nc_u32_e32 v15, 0x1e6, v27
	v_add_nc_u32_e32 v18, 0x32a, v27
	v_mad_u64_u32 v[8:9], null, s9, v27, v[1:2]
	v_mad_u64_u32 v[9:10], null, s9, v28, v[3:4]
	v_mov_b32_e32 v3, v5
	v_mov_b32_e32 v5, v7
	v_add_co_u32 v16, s0, s10, v24
	v_mov_b32_e32 v1, v8
	s_delay_alu instid0(VALU_DEP_4) | instskip(NEXT) | instid1(VALU_DEP_4)
	v_mad_u64_u32 v[7:8], null, s9, v29, v[3:4]
	v_mad_u64_u32 v[10:11], null, s9, v26, v[5:6]
	v_mov_b32_e32 v3, v9
	v_mad_u64_u32 v[8:9], null, s8, v15, 0
	v_mad_u64_u32 v[11:12], null, s8, v18, 0
	v_lshlrev_b64 v[0:1], 4, v[0:1]
	v_mov_b32_e32 v5, v7
	v_add_co_ci_u32_e64 v17, s0, s11, v25, s0
	v_mad_u64_u32 v[13:14], null, s9, v15, v[9:10]
	v_mov_b32_e32 v9, v12
	v_lshlrev_b64 v[2:3], 4, v[2:3]
	v_mov_b32_e32 v7, v10
	v_add_co_u32 v0, s0, v16, v0
	s_delay_alu instid0(VALU_DEP_4)
	v_mad_u64_u32 v[14:15], null, s9, v18, v[9:10]
	v_lshlrev_b64 v[4:5], 4, v[4:5]
	v_mov_b32_e32 v9, v13
	v_add_co_ci_u32_e64 v1, s0, v17, v1, s0
	v_add_co_u32 v2, s0, v16, v2
	v_lshlrev_b64 v[6:7], 4, v[6:7]
	v_mov_b32_e32 v12, v14
	v_add_co_ci_u32_e64 v3, s0, v17, v3, s0
	v_add_co_u32 v4, s0, v16, v4
	v_lshlrev_b64 v[8:9], 4, v[8:9]
	v_add_co_ci_u32_e64 v5, s0, v17, v5, s0
	v_add_co_u32 v6, s0, v16, v6
	v_lshlrev_b64 v[10:11], 4, v[11:12]
	v_add_co_ci_u32_e64 v7, s0, v17, v7, s0
	v_add_co_u32 v12, s0, v16, v8
	s_delay_alu instid0(VALU_DEP_1) | instskip(NEXT) | instid1(VALU_DEP_4)
	v_add_co_ci_u32_e64 v13, s0, v17, v9, s0
	v_add_co_u32 v30, s0, v16, v10
	s_delay_alu instid0(VALU_DEP_1)
	v_add_co_ci_u32_e64 v31, s0, v17, v11, s0
	s_clause 0x5
	global_load_b128 v[16:19], v[0:1], off
	global_load_b128 v[20:23], v[2:3], off
	global_load_b128 v[0:3], v[4:5], off
	global_load_b128 v[8:11], v[6:7], off
	global_load_b128 v[12:15], v[12:13], off
	global_load_b128 v[4:7], v[30:31], off
	v_mov_b32_e32 v30, v26
.LBB0_13:
	s_or_b32 exec_lo, exec_lo, s1
	s_waitcnt vmcnt(3)
	v_add_f64 v[31:32], v[0:1], v[20:21]
	v_add_f64 v[35:36], v[2:3], v[22:23]
	s_waitcnt vmcnt(0)
	v_add_f64 v[33:34], v[4:5], v[12:13]
	v_add_f64 v[37:38], v[6:7], v[14:15]
	v_add_f64 v[39:40], v[20:21], v[16:17]
	v_add_f64 v[41:42], v[22:23], -v[2:3]
	v_add_f64 v[22:23], v[22:23], v[18:19]
	v_add_f64 v[20:21], v[20:21], -v[0:1]
	v_add_f64 v[43:44], v[12:13], v[8:9]
	v_add_f64 v[12:13], v[12:13], -v[4:5]
	v_and_b32_e32 v67, 0xff, v27
	s_mov_b32 s0, 0xe8584caa
	s_mov_b32 s1, 0xbfebb67a
	;; [unrolled: 1-line block ×4, first 2 shown]
	v_mul_lo_u16 v45, 0xab, v67
	v_fma_f64 v[16:17], v[31:32], -0.5, v[16:17]
	v_fma_f64 v[18:19], v[35:36], -0.5, v[18:19]
	v_add_f64 v[31:32], v[14:15], -v[6:7]
	v_fma_f64 v[8:9], v[33:34], -0.5, v[8:9]
	v_add_f64 v[14:15], v[14:15], v[10:11]
	v_fma_f64 v[10:11], v[37:38], -0.5, v[10:11]
	v_add_f64 v[33:34], v[0:1], v[39:40]
	v_add_f64 v[1:2], v[2:3], v[22:23]
	;; [unrolled: 1-line block ×3, first 2 shown]
	v_fma_f64 v[37:38], v[41:42], s[0:1], v[16:17]
	v_fma_f64 v[16:17], v[41:42], s[2:3], v[16:17]
	;; [unrolled: 1-line block ×6, first 2 shown]
	v_lshrrev_b16 v9, 9, v45
	v_add_f64 v[5:6], v[6:7], v[14:15]
	v_fma_f64 v[45:46], v[12:13], s[2:3], v[10:11]
	v_fma_f64 v[47:48], v[12:13], s[0:1], v[10:11]
	v_mad_u32_u24 v14, v27, 24, 0
	v_mul_lo_u16 v0, v9, 3
	v_lshlrev_b32_e32 v15, 4, v27
	v_mad_i32_i24 v12, v30, 24, 0
	v_lshlrev_b32_e32 v13, 4, v30
	v_mul_lo_u16 v11, v67, 57
	v_sub_nc_u16 v0, v27, v0
	v_sub_nc_u32_e32 v8, v14, v15
	v_and_b32_e32 v9, 0xffff, v9
	v_sub_nc_u32_e32 v10, v12, v13
	v_lshrrev_b16 v11, 10, v11
	v_and_b32_e32 v3, 0xff, v0
	v_add_nc_u32_e32 v0, 0x800, v8
	v_add_nc_u32_e32 v4, 0x1400, v8
	v_mul_u32_u24_e32 v9, 0x90, v9
	ds_store_2addr_b64 v14, v[33:34], v[37:38] offset1:1
	ds_store_b64 v14, v[16:17] offset:16
	ds_store_2addr_b64 v12, v[35:36], v[39:40] offset1:1
	ds_store_b64 v12, v[31:32] offset:16
	v_mul_u32_u24_e32 v7, 5, v3
	s_waitcnt lgkmcnt(0)
	s_barrier
	buffer_gl0_inv
	ds_load_b64 v[59:60], v8
	ds_load_b64 v[61:62], v10
	ds_load_2addr_b64 v[16:19], v0 offset0:68 offset1:230
	ds_load_2addr_b64 v[20:23], v4 offset0:8 offset1:170
	v_lshlrev_b32_e32 v7, 4, v7
	s_waitcnt lgkmcnt(0)
	s_barrier
	buffer_gl0_inv
	ds_store_2addr_b64 v14, v[1:2], v[41:42] offset1:1
	ds_store_b64 v14, v[43:44] offset:16
	ds_store_2addr_b64 v12, v[5:6], v[45:46] offset1:1
	ds_store_b64 v12, v[47:48] offset:16
	s_waitcnt lgkmcnt(0)
	s_barrier
	buffer_gl0_inv
	s_clause 0x4
	global_load_b128 v[31:34], v7, s[4:5] offset:32
	global_load_b128 v[35:38], v7, s[4:5] offset:64
	global_load_b128 v[39:42], v7, s[4:5]
	global_load_b128 v[43:46], v7, s[4:5] offset:16
	global_load_b128 v[47:50], v7, s[4:5] offset:48
	ds_load_2addr_b64 v[51:54], v0 offset0:68 offset1:230
	ds_load_2addr_b64 v[55:58], v4 offset0:8 offset1:170
	v_and_b32_e32 v7, 0xffff, v30
	v_lshlrev_b32_e32 v3, 3, v3
	s_delay_alu instid0(VALU_DEP_2) | instskip(NEXT) | instid1(VALU_DEP_2)
	v_mul_u32_u24_e32 v7, 0xe38f, v7
	v_add3_u32 v3, 0, v9, v3
	s_delay_alu instid0(VALU_DEP_2)
	v_lshrrev_b32_e32 v7, 20, v7
	s_waitcnt vmcnt(4)
	v_mul_f64 v[1:2], v[18:19], v[33:34]
	s_waitcnt vmcnt(3)
	v_mul_f64 v[5:6], v[22:23], v[37:38]
	s_waitcnt lgkmcnt(0)
	v_mul_f64 v[37:38], v[57:58], v[37:38]
	s_waitcnt vmcnt(2)
	v_mul_f64 v[63:64], v[61:62], v[41:42]
	v_mul_f64 v[33:34], v[53:54], v[33:34]
	s_waitcnt vmcnt(0)
	v_mul_f64 v[65:66], v[55:56], v[49:50]
	v_fma_f64 v[1:2], v[53:54], v[31:32], -v[1:2]
	v_fma_f64 v[5:6], v[57:58], v[35:36], -v[5:6]
	v_fma_f64 v[22:23], v[22:23], v[35:36], v[37:38]
	v_mul_f64 v[35:36], v[16:17], v[45:46]
	ds_load_b64 v[53:54], v10
	v_mul_f64 v[57:58], v[51:52], v[45:46]
	v_fma_f64 v[18:19], v[18:19], v[31:32], v[33:34]
	v_mul_f64 v[37:38], v[20:21], v[49:50]
	v_fma_f64 v[20:21], v[20:21], v[47:48], v[65:66]
	v_add_f64 v[33:34], v[1:2], v[5:6]
	v_fma_f64 v[35:36], v[51:52], v[43:44], -v[35:36]
	ds_load_b64 v[51:52], v8
	s_waitcnt lgkmcnt(1)
	v_mul_f64 v[41:42], v[53:54], v[41:42]
	v_fma_f64 v[31:32], v[53:54], v[39:40], -v[63:64]
	v_fma_f64 v[16:17], v[16:17], v[43:44], v[57:58]
	v_add_f64 v[45:46], v[18:19], -v[22:23]
	v_fma_f64 v[37:38], v[55:56], v[47:48], -v[37:38]
	v_add_f64 v[47:48], v[1:2], -v[5:6]
	s_waitcnt lgkmcnt(0)
	s_barrier
	buffer_gl0_inv
	v_fma_f64 v[39:40], v[61:62], v[39:40], v[41:42]
	v_add_f64 v[41:42], v[18:19], v[22:23]
	v_fma_f64 v[33:34], v[33:34], -0.5, v[31:32]
	v_add_f64 v[43:44], v[16:17], v[20:21]
	v_add_f64 v[53:54], v[59:60], v[16:17]
	v_add_f64 v[55:56], v[35:36], -v[37:38]
	v_add_f64 v[16:17], v[16:17], -v[20:21]
	v_add_f64 v[1:2], v[31:32], v[1:2]
	v_add_f64 v[18:19], v[39:40], v[18:19]
	v_fma_f64 v[41:42], v[41:42], -0.5, v[39:40]
	v_fma_f64 v[49:50], v[45:46], s[2:3], v[33:34]
	v_fma_f64 v[33:34], v[45:46], s[0:1], v[33:34]
	v_add_f64 v[45:46], v[35:36], v[37:38]
	v_fma_f64 v[39:40], v[43:44], -0.5, v[59:60]
	v_add_f64 v[35:36], v[51:52], v[35:36]
	v_add_f64 v[20:21], v[53:54], v[20:21]
	;; [unrolled: 1-line block ×4, first 2 shown]
	v_fma_f64 v[43:44], v[47:48], s[0:1], v[41:42]
	v_fma_f64 v[41:42], v[47:48], s[2:3], v[41:42]
	v_mul_f64 v[47:48], v[49:50], s[0:1]
	v_fma_f64 v[31:32], v[45:46], -0.5, v[51:52]
	v_mul_f64 v[45:46], v[49:50], 0.5
	v_mul_f64 v[57:58], v[33:34], s[0:1]
	v_mul_f64 v[33:34], v[33:34], -0.5
	v_fma_f64 v[22:23], v[55:56], s[0:1], v[39:40]
	v_add_f64 v[35:36], v[35:36], v[37:38]
	v_fma_f64 v[39:40], v[55:56], s[2:3], v[39:40]
	v_add_f64 v[37:38], v[20:21], v[18:19]
	v_add_f64 v[18:19], v[20:21], -v[18:19]
	v_fma_f64 v[47:48], v[43:44], 0.5, v[47:48]
	v_fma_f64 v[5:6], v[16:17], s[2:3], v[31:32]
	v_fma_f64 v[16:17], v[16:17], s[0:1], v[31:32]
	;; [unrolled: 1-line block ×3, first 2 shown]
	v_fma_f64 v[49:50], v[41:42], -0.5, v[57:58]
	v_fma_f64 v[33:34], v[41:42], s[2:3], v[33:34]
	v_add_f64 v[43:44], v[35:36], v[1:2]
	v_add_f64 v[1:2], v[35:36], -v[1:2]
	v_add_f64 v[20:21], v[22:23], v[47:48]
	v_add_f64 v[22:23], v[22:23], -v[47:48]
	v_add_f64 v[35:36], v[5:6], v[31:32]
	v_add_f64 v[41:42], v[39:40], v[49:50]
	v_add_f64 v[45:46], v[16:17], v[33:34]
	v_add_f64 v[39:40], v[39:40], -v[49:50]
	v_add_f64 v[5:6], v[5:6], -v[31:32]
	;; [unrolled: 1-line block ×3, first 2 shown]
	v_mul_lo_u16 v16, v11, 18
	v_mul_lo_u16 v17, v7, 18
	v_and_b32_e32 v11, 0xffff, v11
	v_mul_u32_u24_e32 v7, 0x1b0, v7
	ds_store_2addr_b64 v3, v[37:38], v[20:21] offset1:3
	ds_store_2addr_b64 v3, v[41:42], v[18:19] offset0:6 offset1:9
	ds_store_2addr_b64 v3, v[22:23], v[39:40] offset0:12 offset1:15
	v_sub_nc_u16 v16, v27, v16
	v_sub_nc_u16 v17, v30, v17
	s_waitcnt lgkmcnt(0)
	s_barrier
	buffer_gl0_inv
	v_and_b32_e32 v63, 0xff, v16
	v_and_b32_e32 v64, 0xffff, v17
	ds_load_2addr_b64 v[16:19], v0 offset0:68 offset1:230
	ds_load_2addr_b64 v[20:23], v4 offset0:8 offset1:170
	ds_load_b64 v[55:56], v8
	ds_load_b64 v[57:58], v10
	s_waitcnt lgkmcnt(0)
	s_barrier
	v_lshlrev_b32_e32 v47, 5, v63
	v_lshlrev_b32_e32 v9, 5, v64
	buffer_gl0_inv
	ds_store_2addr_b64 v3, v[43:44], v[35:36] offset1:3
	ds_store_2addr_b64 v3, v[45:46], v[1:2] offset0:6 offset1:9
	ds_store_2addr_b64 v3, v[5:6], v[31:32] offset0:12 offset1:15
	s_waitcnt lgkmcnt(0)
	s_barrier
	buffer_gl0_inv
	s_clause 0x3
	global_load_b128 v[31:34], v47, s[4:5] offset:240
	global_load_b128 v[35:38], v47, s[4:5] offset:256
	;; [unrolled: 1-line block ×4, first 2 shown]
	ds_load_2addr_b64 v[47:50], v0 offset0:68 offset1:230
	ds_load_2addr_b64 v[51:54], v4 offset0:8 offset1:170
	v_mul_lo_u16 v3, v67, 19
	v_mul_u32_u24_e32 v11, 0x1b0, v11
	s_delay_alu instid0(VALU_DEP_2) | instskip(NEXT) | instid1(VALU_DEP_1)
	v_lshrrev_b16 v3, 10, v3
	v_mul_lo_u16 v9, v3, 54
	v_and_b32_e32 v3, 0xffff, v3
	s_delay_alu instid0(VALU_DEP_2) | instskip(NEXT) | instid1(VALU_DEP_2)
	v_sub_nc_u16 v9, v27, v9
	v_mul_u32_u24_e32 v3, 0xa20, v3
	s_delay_alu instid0(VALU_DEP_2)
	v_and_b32_e32 v9, 0xff, v9
	s_waitcnt vmcnt(3) lgkmcnt(1)
	v_mul_f64 v[1:2], v[47:48], v[33:34]
	s_waitcnt vmcnt(2) lgkmcnt(0)
	v_mul_f64 v[5:6], v[51:52], v[37:38]
	s_waitcnt vmcnt(1)
	v_mul_f64 v[59:60], v[49:50], v[41:42]
	s_waitcnt vmcnt(0)
	v_mul_f64 v[61:62], v[53:54], v[45:46]
	v_mul_f64 v[33:34], v[16:17], v[33:34]
	;; [unrolled: 1-line block ×5, first 2 shown]
	v_fma_f64 v[1:2], v[16:17], v[31:32], v[1:2]
	v_fma_f64 v[5:6], v[20:21], v[35:36], v[5:6]
	;; [unrolled: 1-line block ×4, first 2 shown]
	v_fma_f64 v[20:21], v[47:48], v[31:32], -v[33:34]
	v_fma_f64 v[22:23], v[51:52], v[35:36], -v[37:38]
	;; [unrolled: 1-line block ×4, first 2 shown]
	ds_load_b64 v[43:44], v8
	ds_load_b64 v[45:46], v10
	s_waitcnt lgkmcnt(0)
	s_barrier
	buffer_gl0_inv
	v_add_f64 v[47:48], v[55:56], v[1:2]
	v_add_f64 v[35:36], v[1:2], v[5:6]
	v_add_f64 v[1:2], v[1:2], -v[5:6]
	v_add_f64 v[37:38], v[16:17], v[18:19]
	v_add_f64 v[51:52], v[57:58], v[16:17]
	;; [unrolled: 1-line block ×3, first 2 shown]
	v_add_f64 v[49:50], v[20:21], -v[22:23]
	v_add_f64 v[41:42], v[31:32], v[33:34]
	v_add_f64 v[53:54], v[31:32], -v[33:34]
	v_add_f64 v[20:21], v[43:44], v[20:21]
	v_add_f64 v[31:32], v[45:46], v[31:32]
	v_add_f64 v[16:17], v[16:17], -v[18:19]
	v_add_f64 v[5:6], v[47:48], v[5:6]
	v_fma_f64 v[35:36], v[35:36], -0.5, v[55:56]
	v_fma_f64 v[37:38], v[37:38], -0.5, v[57:58]
	v_add_f64 v[18:19], v[51:52], v[18:19]
	v_fma_f64 v[39:40], v[39:40], -0.5, v[43:44]
	v_fma_f64 v[41:42], v[41:42], -0.5, v[45:46]
	v_add_f64 v[47:48], v[20:21], v[22:23]
	v_add_f64 v[31:32], v[31:32], v[33:34]
	v_mul_u32_u24_e32 v20, 5, v9
	v_fma_f64 v[43:44], v[49:50], s[0:1], v[35:36]
	v_fma_f64 v[35:36], v[49:50], s[2:3], v[35:36]
	;; [unrolled: 1-line block ×8, first 2 shown]
	v_lshlrev_b32_e32 v16, 3, v63
	v_lshlrev_b32_e32 v17, 3, v64
	;; [unrolled: 1-line block ×3, first 2 shown]
	s_delay_alu instid0(VALU_DEP_3) | instskip(NEXT) | instid1(VALU_DEP_3)
	v_add3_u32 v11, 0, v11, v16
	v_add3_u32 v7, 0, v7, v17
	ds_store_2addr_b64 v11, v[5:6], v[43:44] offset1:18
	ds_store_b64 v11, v[35:36] offset:288
	ds_store_2addr_b64 v7, v[18:19], v[45:46] offset1:18
	ds_store_b64 v7, v[37:38] offset:288
	s_waitcnt lgkmcnt(0)
	s_barrier
	buffer_gl0_inv
	ds_load_b64 v[5:6], v8
	ds_load_b64 v[59:60], v10
	ds_load_2addr_b64 v[16:19], v0 offset0:68 offset1:230
	ds_load_2addr_b64 v[20:23], v4 offset0:8 offset1:170
	s_waitcnt lgkmcnt(0)
	s_barrier
	buffer_gl0_inv
	ds_store_2addr_b64 v11, v[47:48], v[33:34] offset1:18
	ds_store_b64 v11, v[1:2] offset:288
	ds_store_2addr_b64 v7, v[31:32], v[39:40] offset1:18
	ds_store_b64 v7, v[41:42] offset:288
	s_waitcnt lgkmcnt(0)
	s_barrier
	buffer_gl0_inv
	s_clause 0x4
	global_load_b128 v[31:34], v49, s[4:5] offset:848
	global_load_b128 v[35:38], v49, s[4:5] offset:880
	;; [unrolled: 1-line block ×5, first 2 shown]
	ds_load_2addr_b64 v[51:54], v0 offset0:68 offset1:230
	ds_load_2addr_b64 v[55:58], v4 offset0:8 offset1:170
	v_lshlrev_b32_e32 v7, 3, v9
	s_waitcnt vmcnt(4)
	v_mul_f64 v[1:2], v[18:19], v[33:34]
	s_waitcnt vmcnt(3)
	v_mul_f64 v[61:62], v[22:23], v[37:38]
	s_waitcnt lgkmcnt(0)
	v_mul_f64 v[37:38], v[57:58], v[37:38]
	s_waitcnt vmcnt(2)
	v_mul_f64 v[63:64], v[59:60], v[41:42]
	v_mul_f64 v[33:34], v[53:54], v[33:34]
	s_waitcnt vmcnt(0)
	v_mul_f64 v[65:66], v[55:56], v[49:50]
	v_fma_f64 v[1:2], v[53:54], v[31:32], -v[1:2]
	v_fma_f64 v[53:54], v[57:58], v[35:36], -v[61:62]
	v_fma_f64 v[22:23], v[22:23], v[35:36], v[37:38]
	v_mul_f64 v[35:36], v[16:17], v[45:46]
	ds_load_b64 v[57:58], v10
	v_mul_f64 v[61:62], v[51:52], v[45:46]
	v_fma_f64 v[18:19], v[18:19], v[31:32], v[33:34]
	v_mul_f64 v[37:38], v[20:21], v[49:50]
	v_fma_f64 v[20:21], v[20:21], v[47:48], v[65:66]
	v_add_f64 v[33:34], v[1:2], v[53:54]
	v_fma_f64 v[35:36], v[51:52], v[43:44], -v[35:36]
	ds_load_b64 v[51:52], v8
	s_waitcnt lgkmcnt(1)
	v_mul_f64 v[41:42], v[57:58], v[41:42]
	v_fma_f64 v[31:32], v[57:58], v[39:40], -v[63:64]
	v_fma_f64 v[16:17], v[16:17], v[43:44], v[61:62]
	v_add_f64 v[45:46], v[18:19], -v[22:23]
	v_fma_f64 v[37:38], v[55:56], v[47:48], -v[37:38]
	v_add_f64 v[47:48], v[1:2], -v[53:54]
	s_waitcnt lgkmcnt(0)
	s_barrier
	buffer_gl0_inv
	v_fma_f64 v[39:40], v[59:60], v[39:40], v[41:42]
	v_add_f64 v[41:42], v[18:19], v[22:23]
	v_fma_f64 v[33:34], v[33:34], -0.5, v[31:32]
	v_add_f64 v[43:44], v[16:17], v[20:21]
	v_add_f64 v[55:56], v[5:6], v[16:17]
	v_add_f64 v[57:58], v[35:36], -v[37:38]
	v_add_f64 v[16:17], v[16:17], -v[20:21]
	v_add_f64 v[1:2], v[31:32], v[1:2]
	v_add_f64 v[18:19], v[39:40], v[18:19]
	v_fma_f64 v[41:42], v[41:42], -0.5, v[39:40]
	v_fma_f64 v[49:50], v[45:46], s[2:3], v[33:34]
	v_fma_f64 v[33:34], v[45:46], s[0:1], v[33:34]
	v_add_f64 v[45:46], v[35:36], v[37:38]
	v_fma_f64 v[5:6], v[43:44], -0.5, v[5:6]
	v_add_f64 v[35:36], v[51:52], v[35:36]
	v_add_f64 v[20:21], v[55:56], v[20:21]
	;; [unrolled: 1-line block ×4, first 2 shown]
	v_fma_f64 v[39:40], v[47:48], s[0:1], v[41:42]
	v_mul_f64 v[43:44], v[49:50], s[0:1]
	v_fma_f64 v[41:42], v[47:48], s[2:3], v[41:42]
	v_mul_f64 v[47:48], v[33:34], s[0:1]
	v_fma_f64 v[31:32], v[45:46], -0.5, v[51:52]
	v_mul_f64 v[45:46], v[49:50], 0.5
	v_mul_f64 v[33:34], v[33:34], -0.5
	v_fma_f64 v[22:23], v[57:58], s[0:1], v[5:6]
	v_fma_f64 v[5:6], v[57:58], s[2:3], v[5:6]
	v_add_f64 v[35:36], v[35:36], v[37:38]
	v_fma_f64 v[43:44], v[39:40], 0.5, v[43:44]
	v_fma_f64 v[47:48], v[41:42], -0.5, v[47:48]
	v_fma_f64 v[37:38], v[16:17], s[2:3], v[31:32]
	v_fma_f64 v[16:17], v[16:17], s[0:1], v[31:32]
	;; [unrolled: 1-line block ×4, first 2 shown]
	v_add_f64 v[39:40], v[20:21], v[18:19]
	v_add_f64 v[18:19], v[20:21], -v[18:19]
	v_add_f64 v[20:21], v[22:23], v[43:44]
	v_add_f64 v[22:23], v[22:23], -v[43:44]
	;; [unrolled: 2-line block ×3, first 2 shown]
	v_add_f64 v[43:44], v[35:36], v[1:2]
	v_add_f64 v[45:46], v[37:38], v[31:32]
	v_add_f64 v[35:36], v[35:36], -v[1:2]
	v_add_f64 v[47:48], v[16:17], v[33:34]
	v_add_f64 v[31:32], v[37:38], -v[31:32]
	v_add_f64 v[16:17], v[16:17], -v[33:34]
	v_add3_u32 v33, 0, v3, v7
	s_delay_alu instid0(VALU_DEP_1)
	v_add_nc_u32_e32 v34, 0x400, v33
	ds_store_2addr_b64 v33, v[39:40], v[20:21] offset1:54
	ds_store_2addr_b64 v33, v[41:42], v[18:19] offset0:108 offset1:162
	ds_store_2addr_b64 v34, v[22:23], v[5:6] offset0:88 offset1:142
	s_waitcnt lgkmcnt(0)
	s_barrier
	buffer_gl0_inv
	ds_load_2addr_b64 v[0:3], v0 offset0:68 offset1:230
	ds_load_2addr_b64 v[4:7], v4 offset0:8 offset1:170
	ds_load_b64 v[8:9], v8
	ds_load_b64 v[10:11], v10
	s_waitcnt lgkmcnt(0)
	s_barrier
	buffer_gl0_inv
	ds_store_2addr_b64 v33, v[43:44], v[45:46] offset1:54
	ds_store_2addr_b64 v33, v[47:48], v[35:36] offset0:108 offset1:162
	ds_store_2addr_b64 v34, v[31:32], v[16:17] offset0:88 offset1:142
	s_waitcnt lgkmcnt(0)
	s_barrier
	buffer_gl0_inv
	s_and_saveexec_b32 s6, vcc_lo
	s_cbranch_execz .LBB0_15
; %bb.14:
	v_dual_mov_b32 v17, 0 :: v_dual_lshlrev_b32 v16, 1, v30
	v_sub_nc_u32_e32 v15, 0, v15
	v_sub_nc_u32_e32 v13, 0, v13
	s_delay_alu instid0(VALU_DEP_3) | instskip(SKIP_1) | instid1(VALU_DEP_4)
	v_lshlrev_b64 v[18:19], 4, v[16:17]
	v_lshlrev_b32_e32 v16, 1, v27
	v_add_nc_u32_e32 v52, v14, v15
	s_delay_alu instid0(VALU_DEP_4) | instskip(NEXT) | instid1(VALU_DEP_3)
	v_add_nc_u32_e32 v12, v12, v13
	v_lshlrev_b64 v[16:17], 4, v[16:17]
	v_add_co_u32 v18, vcc_lo, s4, v18
	v_add_co_ci_u32_e32 v19, vcc_lo, s5, v19, vcc_lo
	v_add_nc_u32_e32 v14, 0x800, v52
	s_delay_alu instid0(VALU_DEP_3) | instskip(NEXT) | instid1(VALU_DEP_3)
	v_add_co_u32 v20, vcc_lo, 0x1410, v18
	v_add_co_ci_u32_e32 v21, vcc_lo, 0, v19, vcc_lo
	v_add_co_u32 v22, vcc_lo, s4, v16
	v_add_co_ci_u32_e32 v23, vcc_lo, s5, v17, vcc_lo
	;; [unrolled: 2-line block ×3, first 2 shown]
	s_delay_alu instid0(VALU_DEP_4) | instskip(NEXT) | instid1(VALU_DEP_4)
	v_add_co_u32 v34, vcc_lo, 0x1410, v22
	v_add_co_ci_u32_e32 v35, vcc_lo, 0, v23, vcc_lo
	v_add_co_u32 v30, vcc_lo, 0x1000, v22
	v_add_co_ci_u32_e32 v31, vcc_lo, 0, v23, vcc_lo
	s_clause 0x3
	global_load_b128 v[16:19], v[16:17], off offset:1040
	global_load_b128 v[20:23], v[20:21], off offset:16
	;; [unrolled: 1-line block ×4, first 2 shown]
	v_add_nc_u32_e32 v15, 0x1400, v52
	ds_load_2addr_b64 v[38:41], v14 offset0:68 offset1:230
	ds_load_2addr_b64 v[42:45], v15 offset0:8 offset1:170
	ds_load_b64 v[12:13], v12
	s_waitcnt vmcnt(3)
	v_mul_f64 v[14:15], v[2:3], v[18:19]
	s_waitcnt vmcnt(2)
	v_mul_f64 v[46:47], v[6:7], v[22:23]
	s_waitcnt lgkmcnt(2)
	v_mul_f64 v[18:19], v[40:41], v[18:19]
	s_waitcnt lgkmcnt(1)
	v_mul_f64 v[22:23], v[44:45], v[22:23]
	s_waitcnt vmcnt(1)
	v_mul_f64 v[48:49], v[0:1], v[32:33]
	s_waitcnt vmcnt(0)
	v_mul_f64 v[50:51], v[4:5], v[36:37]
	v_mul_f64 v[32:33], v[38:39], v[32:33]
	;; [unrolled: 1-line block ×3, first 2 shown]
	v_fma_f64 v[14:15], v[40:41], v[16:17], -v[14:15]
	v_fma_f64 v[40:41], v[44:45], v[20:21], -v[46:47]
	v_fma_f64 v[2:3], v[2:3], v[16:17], v[18:19]
	v_fma_f64 v[6:7], v[6:7], v[20:21], v[22:23]
	v_fma_f64 v[16:17], v[38:39], v[30:31], -v[48:49]
	v_fma_f64 v[18:19], v[42:43], v[34:35], -v[50:51]
	v_fma_f64 v[0:1], v[0:1], v[30:31], v[32:33]
	v_fma_f64 v[4:5], v[4:5], v[34:35], v[36:37]
	ds_load_b64 v[36:37], v52
	v_mad_u64_u32 v[34:35], null, s8, v27, 0
	v_mul_hi_u32 v44, 0xca4587e7, v26
	v_mad_u64_u32 v[38:39], null, s8, v28, 0
	v_mad_u64_u32 v[42:43], null, s8, v29, 0
	s_delay_alu instid0(VALU_DEP_3) | instskip(SKIP_2) | instid1(VALU_DEP_1)
	v_lshrrev_b32_e32 v57, 8, v44
	s_waitcnt lgkmcnt(0)
	v_mad_u64_u32 v[44:45], null, s9, v27, v[35:36]
	v_mov_b32_e32 v35, v44
	v_add_f64 v[47:48], v[12:13], v[14:15]
	v_add_f64 v[20:21], v[14:15], v[40:41]
	v_add_f64 v[49:50], v[14:15], -v[40:41]
	v_add_f64 v[22:23], v[2:3], v[6:7]
	v_add_f64 v[14:15], v[10:11], v[2:3]
	;; [unrolled: 1-line block ×6, first 2 shown]
	v_add_f64 v[16:17], v[16:17], -v[18:19]
	v_add_f64 v[45:46], v[2:3], -v[6:7]
	v_fma_f64 v[12:13], v[20:21], -0.5, v[12:13]
	v_add_f64 v[20:21], v[0:1], -v[4:5]
	v_fma_f64 v[55:56], v[22:23], -0.5, v[10:11]
	v_mad_u64_u32 v[0:1], null, s9, v28, v[39:40]
	v_fma_f64 v[22:23], v[30:31], -0.5, v[36:37]
	v_fma_f64 v[30:31], v[32:33], -0.5, v[8:9]
	v_mad_u64_u32 v[1:2], null, s9, v29, v[43:44]
	v_mad_u32_u24 v2, 0x288, v57, v26
	v_add_co_u32 v57, vcc_lo, s10, v24
	v_add_co_ci_u32_e32 v58, vcc_lo, s11, v25, vcc_lo
	s_delay_alu instid0(VALU_DEP_3) | instskip(SKIP_4) | instid1(VALU_DEP_4)
	v_mad_u64_u32 v[24:25], null, s8, v2, 0
	v_mov_b32_e32 v39, v0
	v_add_nc_u32_e32 v59, 0x144, v2
	v_dual_mov_b32 v43, v1 :: v_dual_add_nc_u32 v60, 0x288, v2
	v_lshlrev_b64 v[32:33], 4, v[34:35]
	v_lshlrev_b64 v[34:35], 4, v[38:39]
	v_mov_b32_e32 v0, v25
	v_add_f64 v[4:5], v[53:54], v[4:5]
	v_mad_u64_u32 v[26:27], null, s8, v59, 0
	v_mad_u64_u32 v[28:29], null, s8, v60, 0
	s_delay_alu instid0(VALU_DEP_4)
	v_mad_u64_u32 v[38:39], null, s9, v2, v[0:1]
	v_add_f64 v[0:1], v[14:15], v[6:7]
	v_add_f64 v[6:7], v[51:52], v[18:19]
	;; [unrolled: 1-line block ×3, first 2 shown]
	v_mov_b32_e32 v25, v27
	v_mov_b32_e32 v27, v29
	v_lshlrev_b64 v[36:37], 4, v[42:43]
	v_fma_f64 v[10:11], v[45:46], s[0:1], v[12:13]
	v_fma_f64 v[14:15], v[45:46], s[2:3], v[12:13]
	;; [unrolled: 1-line block ×4, first 2 shown]
	v_mad_u64_u32 v[39:40], null, s9, v60, v[27:28]
	v_fma_f64 v[18:19], v[20:21], s[0:1], v[22:23]
	v_fma_f64 v[22:23], v[20:21], s[2:3], v[22:23]
	;; [unrolled: 1-line block ×4, first 2 shown]
	v_add_co_u32 v30, vcc_lo, v57, v32
	v_add_co_ci_u32_e32 v31, vcc_lo, v58, v33, vcc_lo
	v_mad_u64_u32 v[32:33], null, s9, v59, v[25:26]
	v_mov_b32_e32 v25, v38
	v_add_co_u32 v33, vcc_lo, v57, v34
	v_mov_b32_e32 v29, v39
	v_add_co_ci_u32_e32 v34, vcc_lo, v58, v35, vcc_lo
	v_mov_b32_e32 v27, v32
	v_lshlrev_b64 v[24:25], 4, v[24:25]
	v_add_co_u32 v35, vcc_lo, v57, v36
	v_add_co_ci_u32_e32 v36, vcc_lo, v58, v37, vcc_lo
	s_delay_alu instid0(VALU_DEP_4) | instskip(SKIP_3) | instid1(VALU_DEP_4)
	v_lshlrev_b64 v[26:27], 4, v[26:27]
	v_lshlrev_b64 v[28:29], 4, v[28:29]
	v_add_co_u32 v24, vcc_lo, v57, v24
	v_add_co_ci_u32_e32 v25, vcc_lo, v58, v25, vcc_lo
	v_add_co_u32 v26, vcc_lo, v57, v26
	v_add_co_ci_u32_e32 v27, vcc_lo, v58, v27, vcc_lo
	;; [unrolled: 2-line block ×3, first 2 shown]
	s_clause 0x5
	global_store_b128 v[30:31], v[4:7], off
	global_store_b128 v[33:34], v[20:23], off
	;; [unrolled: 1-line block ×6, first 2 shown]
.LBB0_15:
	s_nop 0
	s_sendmsg sendmsg(MSG_DEALLOC_VGPRS)
	s_endpgm
	.section	.rodata,"a",@progbits
	.p2align	6, 0x0
	.amdhsa_kernel fft_rtc_back_len972_factors_3_6_3_6_3_wgs_162_tpt_162_halfLds_dp_ip_CI_sbrr_dirReg
		.amdhsa_group_segment_fixed_size 0
		.amdhsa_private_segment_fixed_size 0
		.amdhsa_kernarg_size 88
		.amdhsa_user_sgpr_count 15
		.amdhsa_user_sgpr_dispatch_ptr 0
		.amdhsa_user_sgpr_queue_ptr 0
		.amdhsa_user_sgpr_kernarg_segment_ptr 1
		.amdhsa_user_sgpr_dispatch_id 0
		.amdhsa_user_sgpr_private_segment_size 0
		.amdhsa_wavefront_size32 1
		.amdhsa_uses_dynamic_stack 0
		.amdhsa_enable_private_segment 0
		.amdhsa_system_sgpr_workgroup_id_x 1
		.amdhsa_system_sgpr_workgroup_id_y 0
		.amdhsa_system_sgpr_workgroup_id_z 0
		.amdhsa_system_sgpr_workgroup_info 0
		.amdhsa_system_vgpr_workitem_id 0
		.amdhsa_next_free_vgpr 68
		.amdhsa_next_free_sgpr 23
		.amdhsa_reserve_vcc 1
		.amdhsa_float_round_mode_32 0
		.amdhsa_float_round_mode_16_64 0
		.amdhsa_float_denorm_mode_32 3
		.amdhsa_float_denorm_mode_16_64 3
		.amdhsa_dx10_clamp 1
		.amdhsa_ieee_mode 1
		.amdhsa_fp16_overflow 0
		.amdhsa_workgroup_processor_mode 1
		.amdhsa_memory_ordered 1
		.amdhsa_forward_progress 0
		.amdhsa_shared_vgpr_count 0
		.amdhsa_exception_fp_ieee_invalid_op 0
		.amdhsa_exception_fp_denorm_src 0
		.amdhsa_exception_fp_ieee_div_zero 0
		.amdhsa_exception_fp_ieee_overflow 0
		.amdhsa_exception_fp_ieee_underflow 0
		.amdhsa_exception_fp_ieee_inexact 0
		.amdhsa_exception_int_div_zero 0
	.end_amdhsa_kernel
	.text
.Lfunc_end0:
	.size	fft_rtc_back_len972_factors_3_6_3_6_3_wgs_162_tpt_162_halfLds_dp_ip_CI_sbrr_dirReg, .Lfunc_end0-fft_rtc_back_len972_factors_3_6_3_6_3_wgs_162_tpt_162_halfLds_dp_ip_CI_sbrr_dirReg
                                        ; -- End function
	.section	.AMDGPU.csdata,"",@progbits
; Kernel info:
; codeLenInByte = 5760
; NumSgprs: 25
; NumVgprs: 68
; ScratchSize: 0
; MemoryBound: 1
; FloatMode: 240
; IeeeMode: 1
; LDSByteSize: 0 bytes/workgroup (compile time only)
; SGPRBlocks: 3
; VGPRBlocks: 8
; NumSGPRsForWavesPerEU: 25
; NumVGPRsForWavesPerEU: 68
; Occupancy: 15
; WaveLimiterHint : 1
; COMPUTE_PGM_RSRC2:SCRATCH_EN: 0
; COMPUTE_PGM_RSRC2:USER_SGPR: 15
; COMPUTE_PGM_RSRC2:TRAP_HANDLER: 0
; COMPUTE_PGM_RSRC2:TGID_X_EN: 1
; COMPUTE_PGM_RSRC2:TGID_Y_EN: 0
; COMPUTE_PGM_RSRC2:TGID_Z_EN: 0
; COMPUTE_PGM_RSRC2:TIDIG_COMP_CNT: 0
	.text
	.p2alignl 7, 3214868480
	.fill 96, 4, 3214868480
	.type	__hip_cuid_efbd25ca9fd8af25,@object ; @__hip_cuid_efbd25ca9fd8af25
	.section	.bss,"aw",@nobits
	.globl	__hip_cuid_efbd25ca9fd8af25
__hip_cuid_efbd25ca9fd8af25:
	.byte	0                               ; 0x0
	.size	__hip_cuid_efbd25ca9fd8af25, 1

	.ident	"AMD clang version 19.0.0git (https://github.com/RadeonOpenCompute/llvm-project roc-6.4.0 25133 c7fe45cf4b819c5991fe208aaa96edf142730f1d)"
	.section	".note.GNU-stack","",@progbits
	.addrsig
	.addrsig_sym __hip_cuid_efbd25ca9fd8af25
	.amdgpu_metadata
---
amdhsa.kernels:
  - .args:
      - .actual_access:  read_only
        .address_space:  global
        .offset:         0
        .size:           8
        .value_kind:     global_buffer
      - .offset:         8
        .size:           8
        .value_kind:     by_value
      - .actual_access:  read_only
        .address_space:  global
        .offset:         16
        .size:           8
        .value_kind:     global_buffer
      - .actual_access:  read_only
        .address_space:  global
        .offset:         24
        .size:           8
        .value_kind:     global_buffer
      - .offset:         32
        .size:           8
        .value_kind:     by_value
      - .actual_access:  read_only
        .address_space:  global
        .offset:         40
        .size:           8
        .value_kind:     global_buffer
      - .actual_access:  read_only
        .address_space:  global
        .offset:         48
        .size:           8
        .value_kind:     global_buffer
      - .offset:         56
        .size:           4
        .value_kind:     by_value
      - .actual_access:  read_only
        .address_space:  global
        .offset:         64
        .size:           8
        .value_kind:     global_buffer
      - .actual_access:  read_only
        .address_space:  global
        .offset:         72
        .size:           8
        .value_kind:     global_buffer
      - .address_space:  global
        .offset:         80
        .size:           8
        .value_kind:     global_buffer
    .group_segment_fixed_size: 0
    .kernarg_segment_align: 8
    .kernarg_segment_size: 88
    .language:       OpenCL C
    .language_version:
      - 2
      - 0
    .max_flat_workgroup_size: 162
    .name:           fft_rtc_back_len972_factors_3_6_3_6_3_wgs_162_tpt_162_halfLds_dp_ip_CI_sbrr_dirReg
    .private_segment_fixed_size: 0
    .sgpr_count:     25
    .sgpr_spill_count: 0
    .symbol:         fft_rtc_back_len972_factors_3_6_3_6_3_wgs_162_tpt_162_halfLds_dp_ip_CI_sbrr_dirReg.kd
    .uniform_work_group_size: 1
    .uses_dynamic_stack: false
    .vgpr_count:     68
    .vgpr_spill_count: 0
    .wavefront_size: 32
    .workgroup_processor_mode: 1
amdhsa.target:   amdgcn-amd-amdhsa--gfx1100
amdhsa.version:
  - 1
  - 2
...

	.end_amdgpu_metadata
